;; amdgpu-corpus repo=ROCm/rocFFT kind=compiled arch=gfx950 opt=O3
	.text
	.amdgcn_target "amdgcn-amd-amdhsa--gfx950"
	.amdhsa_code_object_version 6
	.protected	fft_rtc_fwd_len1936_factors_2_2_4_11_11_wgs_176_tpt_176_sp_op_CI_CI_unitstride_sbrr_dirReg ; -- Begin function fft_rtc_fwd_len1936_factors_2_2_4_11_11_wgs_176_tpt_176_sp_op_CI_CI_unitstride_sbrr_dirReg
	.globl	fft_rtc_fwd_len1936_factors_2_2_4_11_11_wgs_176_tpt_176_sp_op_CI_CI_unitstride_sbrr_dirReg
	.p2align	8
	.type	fft_rtc_fwd_len1936_factors_2_2_4_11_11_wgs_176_tpt_176_sp_op_CI_CI_unitstride_sbrr_dirReg,@function
fft_rtc_fwd_len1936_factors_2_2_4_11_11_wgs_176_tpt_176_sp_op_CI_CI_unitstride_sbrr_dirReg: ; @fft_rtc_fwd_len1936_factors_2_2_4_11_11_wgs_176_tpt_176_sp_op_CI_CI_unitstride_sbrr_dirReg
; %bb.0:
	s_load_dwordx4 s[4:7], s[0:1], 0x58
	s_load_dwordx4 s[8:11], s[0:1], 0x0
	;; [unrolled: 1-line block ×3, first 2 shown]
	v_mul_u32_u24_e32 v1, 0x175, v0
	v_add_u32_sdwa v6, s2, v1 dst_sel:DWORD dst_unused:UNUSED_PAD src0_sel:DWORD src1_sel:WORD_1
	v_mov_b32_e32 v4, 0
	s_waitcnt lgkmcnt(0)
	v_cmp_lt_u64_e64 s[2:3], s[10:11], 2
	v_mov_b32_e32 v7, v4
	s_and_b64 vcc, exec, s[2:3]
	v_mov_b64_e32 v[2:3], 0
	s_cbranch_vccnz .LBB0_8
; %bb.1:
	s_load_dwordx2 s[2:3], s[0:1], 0x10
	s_add_u32 s16, s14, 8
	s_addc_u32 s17, s15, 0
	s_add_u32 s18, s12, 8
	s_addc_u32 s19, s13, 0
	s_waitcnt lgkmcnt(0)
	s_add_u32 s20, s2, 8
	v_mov_b64_e32 v[2:3], 0
	s_addc_u32 s21, s3, 0
	s_mov_b64 s[22:23], 1
	v_mov_b64_e32 v[20:21], v[2:3]
.LBB0_2:                                ; =>This Inner Loop Header: Depth=1
	s_load_dwordx2 s[24:25], s[20:21], 0x0
                                        ; implicit-def: $vgpr22_vgpr23
	s_waitcnt lgkmcnt(0)
	v_or_b32_e32 v5, s25, v7
	v_cmp_ne_u64_e32 vcc, 0, v[4:5]
	s_and_saveexec_b64 s[2:3], vcc
	s_xor_b64 s[26:27], exec, s[2:3]
	s_cbranch_execz .LBB0_4
; %bb.3:                                ;   in Loop: Header=BB0_2 Depth=1
	v_cvt_f32_u32_e32 v1, s24
	v_cvt_f32_u32_e32 v5, s25
	s_sub_u32 s2, 0, s24
	s_subb_u32 s3, 0, s25
	v_fmac_f32_e32 v1, 0x4f800000, v5
	v_rcp_f32_e32 v1, v1
	s_nop 0
	v_mul_f32_e32 v1, 0x5f7ffffc, v1
	v_mul_f32_e32 v5, 0x2f800000, v1
	v_trunc_f32_e32 v5, v5
	v_fmac_f32_e32 v1, 0xcf800000, v5
	v_cvt_u32_f32_e32 v5, v5
	v_cvt_u32_f32_e32 v1, v1
	v_mul_lo_u32 v8, s2, v5
	v_mul_hi_u32 v10, s2, v1
	v_mul_lo_u32 v9, s3, v1
	v_add_u32_e32 v10, v10, v8
	v_mul_lo_u32 v12, s2, v1
	v_add_u32_e32 v13, v10, v9
	v_mul_hi_u32 v8, v1, v12
	v_mul_hi_u32 v11, v1, v13
	v_mul_lo_u32 v10, v1, v13
	v_mov_b32_e32 v9, v4
	v_lshl_add_u64 v[8:9], v[8:9], 0, v[10:11]
	v_mul_hi_u32 v11, v5, v12
	v_mul_lo_u32 v12, v5, v12
	v_add_co_u32_e32 v8, vcc, v8, v12
	v_mul_hi_u32 v10, v5, v13
	s_nop 0
	v_addc_co_u32_e32 v8, vcc, v9, v11, vcc
	v_mov_b32_e32 v9, v4
	s_nop 0
	v_addc_co_u32_e32 v11, vcc, 0, v10, vcc
	v_mul_lo_u32 v10, v5, v13
	v_lshl_add_u64 v[8:9], v[8:9], 0, v[10:11]
	v_add_co_u32_e32 v1, vcc, v1, v8
	v_mul_lo_u32 v10, s2, v1
	s_nop 0
	v_addc_co_u32_e32 v5, vcc, v5, v9, vcc
	v_mul_lo_u32 v8, s2, v5
	v_mul_hi_u32 v9, s2, v1
	v_add_u32_e32 v8, v9, v8
	v_mul_lo_u32 v9, s3, v1
	v_add_u32_e32 v12, v8, v9
	v_mul_hi_u32 v14, v5, v10
	v_mul_lo_u32 v15, v5, v10
	v_mul_hi_u32 v9, v1, v12
	v_mul_lo_u32 v8, v1, v12
	v_mul_hi_u32 v10, v1, v10
	v_mov_b32_e32 v11, v4
	v_lshl_add_u64 v[8:9], v[10:11], 0, v[8:9]
	v_add_co_u32_e32 v8, vcc, v8, v15
	v_mul_hi_u32 v13, v5, v12
	s_nop 0
	v_addc_co_u32_e32 v8, vcc, v9, v14, vcc
	v_mul_lo_u32 v10, v5, v12
	s_nop 0
	v_addc_co_u32_e32 v11, vcc, 0, v13, vcc
	v_mov_b32_e32 v9, v4
	v_lshl_add_u64 v[8:9], v[8:9], 0, v[10:11]
	v_add_co_u32_e32 v1, vcc, v1, v8
	v_mul_hi_u32 v10, v6, v1
	s_nop 0
	v_addc_co_u32_e32 v5, vcc, v5, v9, vcc
	v_mad_u64_u32 v[8:9], s[2:3], v6, v5, 0
	v_mov_b32_e32 v11, v4
	v_lshl_add_u64 v[8:9], v[10:11], 0, v[8:9]
	v_mad_u64_u32 v[12:13], s[2:3], v7, v1, 0
	v_add_co_u32_e32 v1, vcc, v8, v12
	v_mad_u64_u32 v[10:11], s[2:3], v7, v5, 0
	s_nop 0
	v_addc_co_u32_e32 v8, vcc, v9, v13, vcc
	v_mov_b32_e32 v9, v4
	s_nop 0
	v_addc_co_u32_e32 v11, vcc, 0, v11, vcc
	v_lshl_add_u64 v[8:9], v[8:9], 0, v[10:11]
	v_mul_lo_u32 v1, s25, v8
	v_mul_lo_u32 v5, s24, v9
	v_mad_u64_u32 v[10:11], s[2:3], s24, v8, 0
	v_add3_u32 v1, v11, v5, v1
	v_sub_u32_e32 v5, v7, v1
	v_mov_b32_e32 v11, s25
	v_sub_co_u32_e32 v14, vcc, v6, v10
	v_lshl_add_u64 v[12:13], v[8:9], 0, 1
	s_nop 0
	v_subb_co_u32_e64 v5, s[2:3], v5, v11, vcc
	v_subrev_co_u32_e64 v10, s[2:3], s24, v14
	v_subb_co_u32_e32 v1, vcc, v7, v1, vcc
	s_nop 0
	v_subbrev_co_u32_e64 v5, s[2:3], 0, v5, s[2:3]
	v_cmp_le_u32_e64 s[2:3], s25, v5
	v_cmp_le_u32_e32 vcc, s25, v1
	s_nop 0
	v_cndmask_b32_e64 v11, 0, -1, s[2:3]
	v_cmp_le_u32_e64 s[2:3], s24, v10
	s_nop 1
	v_cndmask_b32_e64 v10, 0, -1, s[2:3]
	v_cmp_eq_u32_e64 s[2:3], s25, v5
	s_nop 1
	v_cndmask_b32_e64 v5, v11, v10, s[2:3]
	v_lshl_add_u64 v[10:11], v[8:9], 0, 2
	v_cmp_ne_u32_e64 s[2:3], 0, v5
	s_nop 1
	v_cndmask_b32_e64 v5, v13, v11, s[2:3]
	v_cndmask_b32_e64 v11, 0, -1, vcc
	v_cmp_le_u32_e32 vcc, s24, v14
	s_nop 1
	v_cndmask_b32_e64 v13, 0, -1, vcc
	v_cmp_eq_u32_e32 vcc, s25, v1
	s_nop 1
	v_cndmask_b32_e32 v1, v11, v13, vcc
	v_cmp_ne_u32_e32 vcc, 0, v1
	v_cndmask_b32_e64 v1, v12, v10, s[2:3]
	s_nop 0
	v_cndmask_b32_e32 v23, v9, v5, vcc
	v_cndmask_b32_e32 v22, v8, v1, vcc
.LBB0_4:                                ;   in Loop: Header=BB0_2 Depth=1
	s_andn2_saveexec_b64 s[2:3], s[26:27]
	s_cbranch_execz .LBB0_6
; %bb.5:                                ;   in Loop: Header=BB0_2 Depth=1
	v_cvt_f32_u32_e32 v1, s24
	s_sub_i32 s26, 0, s24
	v_mov_b32_e32 v23, v4
	v_rcp_iflag_f32_e32 v1, v1
	s_nop 0
	v_mul_f32_e32 v1, 0x4f7ffffe, v1
	v_cvt_u32_f32_e32 v1, v1
	v_mul_lo_u32 v5, s26, v1
	v_mul_hi_u32 v5, v1, v5
	v_add_u32_e32 v1, v1, v5
	v_mul_hi_u32 v1, v6, v1
	v_mul_lo_u32 v5, v1, s24
	v_sub_u32_e32 v5, v6, v5
	v_add_u32_e32 v8, 1, v1
	v_subrev_u32_e32 v9, s24, v5
	v_cmp_le_u32_e32 vcc, s24, v5
	s_nop 1
	v_cndmask_b32_e32 v5, v5, v9, vcc
	v_cndmask_b32_e32 v1, v1, v8, vcc
	v_add_u32_e32 v8, 1, v1
	v_cmp_le_u32_e32 vcc, s24, v5
	s_nop 1
	v_cndmask_b32_e32 v22, v1, v8, vcc
.LBB0_6:                                ;   in Loop: Header=BB0_2 Depth=1
	s_or_b64 exec, exec, s[2:3]
	v_mad_u64_u32 v[8:9], s[2:3], v22, s24, 0
	s_load_dwordx2 s[2:3], s[18:19], 0x0
	v_mul_lo_u32 v1, v23, s24
	v_mul_lo_u32 v5, v22, s25
	s_load_dwordx2 s[24:25], s[16:17], 0x0
	s_add_u32 s22, s22, 1
	v_add3_u32 v1, v9, v5, v1
	v_sub_co_u32_e32 v5, vcc, v6, v8
	s_addc_u32 s23, s23, 0
	s_nop 0
	v_subb_co_u32_e32 v1, vcc, v7, v1, vcc
	s_add_u32 s16, s16, 8
	s_waitcnt lgkmcnt(0)
	v_mul_lo_u32 v6, s2, v1
	v_mul_lo_u32 v7, s3, v5
	v_mad_u64_u32 v[2:3], s[2:3], s2, v5, v[2:3]
	s_addc_u32 s17, s17, 0
	v_add3_u32 v3, v7, v3, v6
	v_mul_lo_u32 v1, s24, v1
	v_mul_lo_u32 v6, s25, v5
	v_mad_u64_u32 v[20:21], s[2:3], s24, v5, v[20:21]
	s_add_u32 s18, s18, 8
	v_add3_u32 v21, v6, v21, v1
	s_addc_u32 s19, s19, 0
	v_mov_b64_e32 v[6:7], s[10:11]
	s_add_u32 s20, s20, 8
	v_cmp_ge_u64_e32 vcc, s[22:23], v[6:7]
	s_addc_u32 s21, s21, 0
	s_cbranch_vccnz .LBB0_9
; %bb.7:                                ;   in Loop: Header=BB0_2 Depth=1
	v_mov_b64_e32 v[6:7], v[22:23]
	s_branch .LBB0_2
.LBB0_8:
	v_mov_b64_e32 v[20:21], v[2:3]
	v_mov_b64_e32 v[22:23], v[6:7]
.LBB0_9:
	s_load_dwordx2 s[18:19], s[0:1], 0x28
	s_lshl_b64 s[16:17], s[10:11], 3
	s_add_u32 s2, s14, s16
	s_addc_u32 s3, s15, s17
                                        ; implicit-def: $sgpr14
                                        ; implicit-def: $sgpr15
                                        ; implicit-def: $vgpr25
	s_waitcnt lgkmcnt(0)
	v_cmp_gt_u64_e64 s[0:1], s[18:19], v[22:23]
	v_cmp_le_u64_e32 vcc, s[18:19], v[22:23]
	s_and_saveexec_b64 s[10:11], vcc
	s_xor_b64 s[10:11], exec, s[10:11]
; %bb.10:
	s_mov_b32 s14, 0x1745d18
	v_mul_hi_u32 v1, v0, s14
	v_mul_u32_u24_e32 v1, 0xb0, v1
	v_sub_u32_e32 v25, v0, v1
	s_mov_b32 s15, 0
	s_mov_b32 s14, 0
                                        ; implicit-def: $vgpr0
                                        ; implicit-def: $vgpr2_vgpr3
; %bb.11:
	s_or_saveexec_b64 s[10:11], s[10:11]
	s_load_dwordx2 s[2:3], s[2:3], 0x0
	v_mov_b32_e32 v24, s15
	v_mov_b32_e32 v6, s14
	;; [unrolled: 1-line block ×3, first 2 shown]
                                        ; implicit-def: $vgpr16
                                        ; implicit-def: $vgpr32
                                        ; implicit-def: $vgpr34
                                        ; implicit-def: $vgpr28
                                        ; implicit-def: $vgpr30
                                        ; implicit-def: $vgpr12
                                        ; implicit-def: $vgpr14
                                        ; implicit-def: $vgpr8
                                        ; implicit-def: $vgpr26
                                        ; implicit-def: $vgpr4
                                        ; implicit-def: $vgpr10
	s_xor_b64 exec, exec, s[10:11]
	s_cbranch_execz .LBB0_15
; %bb.12:
	s_add_u32 s12, s12, s16
	s_addc_u32 s13, s13, s17
	s_load_dwordx2 s[12:13], s[12:13], 0x0
	s_mov_b32 s14, 0x1745d18
	v_mov_b32_e32 v7, 0
	s_waitcnt lgkmcnt(0)
	v_mul_lo_u32 v1, s13, v22
	v_mul_lo_u32 v6, s12, v23
	v_mad_u64_u32 v[4:5], s[12:13], s12, v22, 0
	v_add3_u32 v5, v5, v6, v1
	v_mul_hi_u32 v1, v0, s14
	v_mul_u32_u24_e32 v1, 0xb0, v1
	v_sub_u32_e32 v25, v0, v1
	v_lshl_add_u64 v[0:1], v[4:5], 3, s[4:5]
	v_lshl_add_u64 v[0:1], v[2:3], 3, v[0:1]
	v_lshlrev_b32_e32 v6, 3, v25
	v_lshl_add_u64 v[0:1], v[0:1], 0, v[6:7]
	s_movk_i32 s4, 0x1000
	v_add_co_u32_e32 v2, vcc, s4, v0
	s_movk_i32 s4, 0x2000
	s_nop 0
	v_addc_co_u32_e32 v3, vcc, 0, v1, vcc
	v_add_co_u32_e32 v16, vcc, s4, v0
	s_movk_i32 s4, 0x58
	s_nop 0
	v_addc_co_u32_e32 v17, vcc, 0, v1, vcc
	global_load_dwordx2 v[30:31], v[16:17], off offset:960
	global_load_dwordx2 v[14:15], v[16:17], off offset:2368
	global_load_dwordx2 v[32:33], v[0:1], off
	global_load_dwordx2 v[28:29], v[0:1], off offset:1408
	global_load_dwordx2 v[12:13], v[0:1], off offset:2816
	;; [unrolled: 1-line block ×5, first 2 shown]
	v_add_co_u32_e32 v2, vcc, 0x3000, v0
	v_mov_b32_e32 v6, v7
	s_nop 0
	v_addc_co_u32_e32 v3, vcc, 0, v1, vcc
	global_load_dwordx2 v[26:27], v[16:17], off offset:3776
	global_load_dwordx2 v[10:11], v[2:3], off offset:1088
	v_cmp_gt_u32_e32 vcc, s4, v25
                                        ; implicit-def: $vgpr17
	s_and_saveexec_b64 s[4:5], vcc
	s_cbranch_execz .LBB0_14
; %bb.13:
	v_add_co_u32_e32 v2, vcc, 0x1000, v0
	s_nop 1
	v_addc_co_u32_e32 v3, vcc, 0, v1, vcc
	v_add_co_u32_e32 v0, vcc, 0x3000, v0
	s_nop 1
	v_addc_co_u32_e32 v1, vcc, 0, v1, vcc
	global_load_dwordx2 v[6:7], v[2:3], off offset:2944
	global_load_dwordx2 v[16:17], v[0:1], off offset:2496
.LBB0_14:
	s_or_b64 exec, exec, s[4:5]
	v_mov_b32_e32 v24, v25
.LBB0_15:
	s_or_b64 exec, exec, s[10:11]
	s_waitcnt vmcnt(3)
	v_pk_add_f32 v[0:1], v[32:33], v[34:35] neg_lo:[0,1] neg_hi:[0,1]
	v_lshl_add_u32 v36, v25, 4, 0
	v_pk_fma_f32 v[2:3], v[32:33], 2.0, v[0:1] op_sel_hi:[1,0,1] neg_lo:[0,0,1] neg_hi:[0,0,1]
	s_waitcnt vmcnt(0)
	v_pk_add_f32 v[18:19], v[6:7], v[16:17] neg_lo:[0,1] neg_hi:[0,1]
	ds_write2_b64 v36, v[2:3], v[0:1] offset1:1
	v_add_u32_e32 v38, 0xb0, v25
	v_pk_add_f32 v[0:1], v[28:29], v[30:31] neg_lo:[0,1] neg_hi:[0,1]
	v_pk_fma_f32 v[16:17], v[6:7], 2.0, v[18:19] op_sel_hi:[1,0,1] neg_lo:[0,0,1] neg_hi:[0,0,1]
	v_lshl_add_u32 v6, v38, 4, 0
	v_pk_fma_f32 v[2:3], v[28:29], 2.0, v[0:1] op_sel_hi:[1,0,1] neg_lo:[0,0,1] neg_hi:[0,0,1]
	ds_write2_b64 v6, v[2:3], v[0:1] offset1:1
	v_add_u32_e32 v37, 0x160, v25
	v_pk_add_f32 v[0:1], v[12:13], v[14:15] neg_lo:[0,1] neg_hi:[0,1]
	v_lshl_add_u32 v6, v37, 4, 0
	v_pk_fma_f32 v[2:3], v[12:13], 2.0, v[0:1] op_sel_hi:[1,0,1] neg_lo:[0,0,1] neg_hi:[0,0,1]
	ds_write2_b64 v6, v[2:3], v[0:1] offset1:1
	v_add_u32_e32 v33, 0x210, v25
	v_pk_add_f32 v[0:1], v[8:9], v[26:27] neg_lo:[0,1] neg_hi:[0,1]
	;; [unrolled: 5-line block ×3, first 2 shown]
	s_movk_i32 s4, 0x58
	v_lshl_add_u32 v6, v35, 4, 0
	v_pk_fma_f32 v[2:3], v[4:5], 2.0, v[0:1] op_sel_hi:[1,0,1] neg_lo:[0,0,1] neg_hi:[0,0,1]
	v_add_u32_e32 v34, 0x370, v25
	v_cmp_gt_u32_e32 vcc, s4, v25
	ds_write2_b64 v6, v[2:3], v[0:1] offset1:1
	s_and_saveexec_b64 s[4:5], vcc
	s_cbranch_execz .LBB0_17
; %bb.16:
	v_lshl_add_u32 v0, v34, 4, 0
	ds_write2_b64 v0, v[16:17], v[18:19] offset1:1
.LBB0_17:
	s_or_b64 exec, exec, s[4:5]
	v_lshlrev_b32_e32 v40, 3, v25
	v_sub_u32_e32 v28, v36, v40
	v_add_u32_e32 v4, 0x1c00, v28
	s_waitcnt lgkmcnt(0)
	s_barrier
	ds_read2_b64 v[8:11], v4 offset0:72 offset1:248
	v_add_u32_e32 v4, 0xa00, v28
	v_add_u32_e32 v12, 0x2800, v28
	ds_read2_b64 v[0:3], v28 offset1:176
	ds_read2_b64 v[4:7], v4 offset0:32 offset1:208
	ds_read2_b64 v[12:15], v12 offset0:40 offset1:216
	ds_read_b64 v[26:27], v28 offset:5632
	ds_read_b64 v[28:29], v28 offset:13376
	v_lshlrev_b32_e32 v39, 1, v33
	v_lshlrev_b32_e32 v33, 1, v35
	v_sub_u32_e32 v35, 0, v40
	v_lshlrev_b32_e32 v30, 1, v25
	v_lshlrev_b32_e32 v31, 1, v38
	;; [unrolled: 1-line block ×3, first 2 shown]
	v_add_u32_e32 v36, v36, v35
	s_and_saveexec_b64 s[4:5], vcc
	s_cbranch_execz .LBB0_19
; %bb.18:
	ds_read_b64 v[16:17], v36 offset:7040
	ds_read_b64 v[18:19], v36 offset:14784
.LBB0_19:
	s_or_b64 exec, exec, s[4:5]
	v_and_b32_e32 v35, 1, v25
	v_lshlrev_b32_e32 v40, 3, v35
	global_load_dwordx2 v[40:41], v40, s[8:9]
	s_movk_i32 s4, 0x1fc
	s_movk_i32 s5, 0x3fc
	s_movk_i32 s10, 0x7fc
	s_waitcnt lgkmcnt(0)
	v_mov_b32_e32 v42, v19
	v_and_or_b32 v30, v30, s4, v35
	v_and_or_b32 v31, v31, s5, v35
	v_and_or_b32 v32, v32, s10, v35
	v_and_or_b32 v33, v33, s10, v35
	v_lshl_add_u32 v52, v30, 3, 0
	v_lshl_add_u32 v53, v31, 3, 0
	;; [unrolled: 1-line block ×4, first 2 shown]
	v_and_or_b32 v39, v39, s10, v35
	s_barrier
	v_lshl_add_u32 v39, v39, 3, 0
	s_waitcnt vmcnt(0)
	v_pk_mul_f32 v[30:31], v[40:41], v[28:29] op_sel:[0,1]
	v_pk_mul_f32 v[32:33], v[42:43], v[40:41] op_sel_hi:[0,1]
	v_pk_mul_f32 v[42:43], v[40:41], v[8:9] op_sel:[0,1]
	v_pk_mul_f32 v[44:45], v[40:41], v[10:11] op_sel:[0,1]
	;; [unrolled: 1-line block ×4, first 2 shown]
	v_pk_fma_f32 v[50:51], v[40:41], v[28:29], v[30:31] op_sel:[0,0,1] op_sel_hi:[1,1,0] neg_lo:[0,0,1] neg_hi:[0,0,1]
	v_pk_fma_f32 v[28:29], v[40:41], v[28:29], v[30:31] op_sel:[0,0,1] op_sel_hi:[1,0,0]
	v_pk_fma_f32 v[30:31], v[18:19], v[40:41], v[32:33] op_sel:[0,0,1] op_sel_hi:[1,1,0] neg_lo:[0,0,1] neg_hi:[0,0,1]
	v_pk_fma_f32 v[18:19], v[18:19], v[40:41], v[32:33] op_sel:[0,0,1] op_sel_hi:[0,1,0]
	;; [unrolled: 2-line block ×6, first 2 shown]
	v_mov_b32_e32 v51, v29
	v_mov_b32_e32 v31, v19
	;; [unrolled: 1-line block ×6, first 2 shown]
	v_pk_add_f32 v[28:29], v[26:27], v[50:51] neg_lo:[0,1] neg_hi:[0,1]
	v_pk_add_f32 v[30:31], v[16:17], v[30:31] neg_lo:[0,1] neg_hi:[0,1]
	;; [unrolled: 1-line block ×6, first 2 shown]
	v_pk_fma_f32 v[26:27], v[26:27], 2.0, v[28:29] op_sel_hi:[1,0,1] neg_lo:[0,0,1] neg_hi:[0,0,1]
	v_pk_fma_f32 v[32:33], v[16:17], 2.0, v[30:31] op_sel_hi:[1,0,1] neg_lo:[0,0,1] neg_hi:[0,0,1]
	;; [unrolled: 1-line block ×6, first 2 shown]
	ds_write2_b64 v52, v[0:1], v[8:9] offset1:2
	ds_write2_b64 v53, v[2:3], v[10:11] offset1:2
	;; [unrolled: 1-line block ×5, first 2 shown]
	s_and_saveexec_b64 s[4:5], vcc
	s_cbranch_execz .LBB0_21
; %bb.20:
	v_lshlrev_b32_e32 v0, 1, v34
	v_and_or_b32 v0, v0, s10, v35
	v_lshl_add_u32 v0, v0, 3, 0
	ds_write2_b64 v0, v[32:33], v[30:31] offset1:2
.LBB0_21:
	s_or_b64 exec, exec, s[4:5]
	v_add_u32_e32 v4, 0xe00, v36
	s_waitcnt lgkmcnt(0)
	s_barrier
	ds_read2_b64 v[8:11], v4 offset0:36 offset1:212
	v_add_u32_e32 v4, 0x1c00, v36
	ds_read2_b64 v[12:15], v4 offset0:72 offset1:248
	v_add_u32_e32 v4, 0x2c00, v36
	ds_read2_b64 v[0:3], v36 offset1:176
	ds_read2_b64 v[16:19], v4 offset0:44 offset1:220
	s_movk_i32 s4, 0x84
	v_cmp_gt_u32_e32 vcc, s4, v25
	s_and_saveexec_b64 s[4:5], vcc
	s_cbranch_execz .LBB0_23
; %bb.22:
	ds_read_b64 v[26:27], v36 offset:2816
	ds_read_b64 v[28:29], v36 offset:6688
	;; [unrolled: 1-line block ×4, first 2 shown]
.LBB0_23:
	s_or_b64 exec, exec, s[4:5]
	v_and_b32_e32 v39, 3, v25
	v_mul_u32_u24_e32 v4, 3, v39
	v_lshlrev_b32_e32 v40, 3, v4
	global_load_dwordx4 v[4:7], v40, s[8:9] offset:16
	global_load_dwordx2 v[34:35], v40, s[8:9] offset:32
	v_lshlrev_b32_e32 v40, 2, v25
	s_movk_i32 s4, 0x3f0
	v_and_or_b32 v40, v40, s4, v39
	v_lshl_add_u32 v54, v40, 3, 0
	v_lshlrev_b32_e32 v38, 2, v38
	s_movk_i32 s5, 0x7f0
	v_and_or_b32 v38, v38, s5, v39
	v_lshl_add_u32 v38, v38, 3, 0
	s_waitcnt lgkmcnt(0)
	s_barrier
	s_waitcnt vmcnt(1)
	v_pk_mul_f32 v[40:41], v[4:5], v[8:9] op_sel:[0,1]
	v_pk_mul_f32 v[42:43], v[6:7], v[12:13] op_sel:[0,1]
	s_waitcnt vmcnt(0)
	v_pk_mul_f32 v[44:45], v[34:35], v[16:17] op_sel:[0,1]
	v_pk_mul_f32 v[46:47], v[4:5], v[10:11] op_sel:[0,1]
	;; [unrolled: 1-line block ×4, first 2 shown]
	v_pk_fma_f32 v[52:53], v[4:5], v[8:9], v[40:41] op_sel:[0,0,1] op_sel_hi:[1,1,0] neg_lo:[0,0,1] neg_hi:[0,0,1]
	v_pk_fma_f32 v[8:9], v[4:5], v[8:9], v[40:41] op_sel:[0,0,1] op_sel_hi:[1,0,0]
	v_pk_fma_f32 v[40:41], v[6:7], v[12:13], v[42:43] op_sel:[0,0,1] op_sel_hi:[1,1,0] neg_lo:[0,0,1] neg_hi:[0,0,1]
	v_pk_fma_f32 v[12:13], v[6:7], v[12:13], v[42:43] op_sel:[0,0,1] op_sel_hi:[1,0,0]
	;; [unrolled: 2-line block ×6, first 2 shown]
	v_mov_b32_e32 v53, v9
	v_mov_b32_e32 v41, v13
	;; [unrolled: 1-line block ×6, first 2 shown]
	v_pk_add_f32 v[8:9], v[0:1], v[40:41] neg_lo:[0,1] neg_hi:[0,1]
	v_pk_add_f32 v[10:11], v[52:53], v[42:43] neg_lo:[0,1] neg_hi:[0,1]
	;; [unrolled: 1-line block ×4, first 2 shown]
	v_pk_fma_f32 v[0:1], v[0:1], 2.0, v[8:9] op_sel_hi:[1,0,1] neg_lo:[0,0,1] neg_hi:[0,0,1]
	v_pk_fma_f32 v[16:17], v[52:53], 2.0, v[10:11] op_sel_hi:[1,0,1] neg_lo:[0,0,1] neg_hi:[0,0,1]
	v_pk_add_f32 v[18:19], v[8:9], v[10:11] op_sel:[0,1] op_sel_hi:[1,0] neg_lo:[0,1] neg_hi:[0,1]
	v_pk_add_f32 v[10:11], v[8:9], v[10:11] op_sel:[0,1] op_sel_hi:[1,0]
	v_pk_fma_f32 v[2:3], v[2:3], 2.0, v[12:13] op_sel_hi:[1,0,1] neg_lo:[0,0,1] neg_hi:[0,0,1]
	v_pk_fma_f32 v[40:41], v[44:45], 2.0, v[14:15] op_sel_hi:[1,0,1] neg_lo:[0,0,1] neg_hi:[0,0,1]
	v_pk_add_f32 v[42:43], v[12:13], v[14:15] op_sel:[0,1] op_sel_hi:[1,0] neg_lo:[0,1] neg_hi:[0,1]
	v_pk_add_f32 v[14:15], v[12:13], v[14:15] op_sel:[0,1] op_sel_hi:[1,0]
	v_pk_add_f32 v[16:17], v[0:1], v[16:17] neg_lo:[0,1] neg_hi:[0,1]
	v_mov_b32_e32 v19, v11
	v_pk_add_f32 v[10:11], v[2:3], v[40:41] neg_lo:[0,1] neg_hi:[0,1]
	v_mov_b32_e32 v43, v15
	v_pk_fma_f32 v[0:1], v[0:1], 2.0, v[16:17] op_sel_hi:[1,0,1] neg_lo:[0,0,1] neg_hi:[0,0,1]
	v_pk_fma_f32 v[8:9], v[8:9], 2.0, v[18:19] op_sel_hi:[1,0,1] neg_lo:[0,0,1] neg_hi:[0,0,1]
	ds_write2_b64 v54, v[16:17], v[18:19] offset0:8 offset1:12
	v_pk_fma_f32 v[2:3], v[2:3], 2.0, v[10:11] op_sel_hi:[1,0,1] neg_lo:[0,0,1] neg_hi:[0,0,1]
	v_pk_fma_f32 v[12:13], v[12:13], 2.0, v[42:43] op_sel_hi:[1,0,1] neg_lo:[0,0,1] neg_hi:[0,0,1]
	ds_write2_b64 v54, v[0:1], v[8:9] offset1:4
	ds_write2_b64 v38, v[2:3], v[12:13] offset1:4
	ds_write2_b64 v38, v[10:11], v[42:43] offset0:8 offset1:12
	s_and_saveexec_b64 s[4:5], vcc
	s_cbranch_execz .LBB0_25
; %bb.24:
	v_mov_b32_e32 v0, v33
	v_mov_b32_e32 v2, v29
	v_lshlrev_b32_e32 v10, 2, v37
	s_movk_i32 s10, 0xff0
	v_pk_mul_f32 v[0:1], v[0:1], v[6:7] op_sel_hi:[0,1]
	v_pk_mul_f32 v[2:3], v[2:3], v[4:5] op_sel_hi:[0,1]
	v_mov_b32_e32 v8, v31
	v_and_or_b32 v10, v10, s10, v39
	v_pk_mul_f32 v[8:9], v[8:9], v[34:35] op_sel_hi:[0,1]
	v_lshl_add_u32 v12, v10, 3, 0
	v_pk_fma_f32 v[10:11], v[32:33], v[6:7], v[0:1] op_sel:[0,0,1] op_sel_hi:[1,1,0] neg_lo:[0,0,1] neg_hi:[0,0,1]
	v_pk_fma_f32 v[0:1], v[32:33], v[6:7], v[0:1] op_sel:[0,0,1] op_sel_hi:[0,1,0]
	v_pk_fma_f32 v[6:7], v[28:29], v[4:5], v[2:3] op_sel:[0,0,1] op_sel_hi:[1,1,0] neg_lo:[0,0,1] neg_hi:[0,0,1]
	v_pk_fma_f32 v[2:3], v[28:29], v[4:5], v[2:3] op_sel:[0,0,1] op_sel_hi:[0,1,0]
	v_mov_b32_e32 v7, v3
	v_pk_fma_f32 v[2:3], v[30:31], v[34:35], v[8:9] op_sel:[0,0,1] op_sel_hi:[1,1,0] neg_lo:[0,0,1] neg_hi:[0,0,1]
	v_pk_fma_f32 v[4:5], v[30:31], v[34:35], v[8:9] op_sel:[0,0,1] op_sel_hi:[0,1,0]
	v_mov_b32_e32 v11, v1
	v_mov_b32_e32 v3, v5
	v_pk_add_f32 v[0:1], v[26:27], v[10:11] neg_lo:[0,1] neg_hi:[0,1]
	v_pk_add_f32 v[2:3], v[6:7], v[2:3] neg_lo:[0,1] neg_hi:[0,1]
	v_pk_fma_f32 v[4:5], v[26:27], 2.0, v[0:1] op_sel_hi:[1,0,1] neg_lo:[0,0,1] neg_hi:[0,0,1]
	v_pk_fma_f32 v[6:7], v[6:7], 2.0, v[2:3] op_sel_hi:[1,0,1] neg_lo:[0,0,1] neg_hi:[0,0,1]
	v_pk_add_f32 v[8:9], v[0:1], v[2:3] op_sel:[0,1] op_sel_hi:[1,0] neg_lo:[0,1] neg_hi:[0,1]
	v_pk_add_f32 v[2:3], v[0:1], v[2:3] op_sel:[0,1] op_sel_hi:[1,0]
	v_pk_add_f32 v[6:7], v[4:5], v[6:7] neg_lo:[0,1] neg_hi:[0,1]
	v_mov_b32_e32 v9, v3
	v_pk_fma_f32 v[4:5], v[4:5], 2.0, v[6:7] op_sel_hi:[1,0,1] neg_lo:[0,0,1] neg_hi:[0,0,1]
	v_pk_fma_f32 v[0:1], v[0:1], 2.0, v[8:9] op_sel_hi:[1,0,1] neg_lo:[0,0,1] neg_hi:[0,0,1]
	ds_write2_b64 v12, v[4:5], v[0:1] offset1:4
	ds_write2_b64 v12, v[6:7], v[8:9] offset0:8 offset1:12
.LBB0_25:
	s_or_b64 exec, exec, s[4:5]
	v_and_b32_e32 v39, 15, v25
	v_mul_u32_u24_e32 v0, 10, v39
	v_lshlrev_b32_e32 v0, 3, v0
	s_waitcnt lgkmcnt(0)
	s_barrier
	global_load_dwordx4 v[4:7], v0, s[8:9] offset:112
	global_load_dwordx4 v[8:11], v0, s[8:9] offset:128
	;; [unrolled: 1-line block ×5, first 2 shown]
	ds_read2_b64 v[0:3], v36 offset1:176
	v_add_u32_e32 v35, 0xa00, v36
	v_lshl_add_u32 v34, v25, 3, 0
	v_lshrrev_b32_e32 v40, 4, v25
	v_add_u32_e32 v37, 0x2000, v36
	ds_read_b64 v[48:49], v36 offset:5632
	ds_read_b64 v[50:51], v36 offset:14080
	ds_read2_b64 v[30:33], v35 offset0:32 offset1:208
	ds_read_b64 v[52:53], v34 offset:7040
	v_add_u32_e32 v38, 0x2c00, v36
	v_mul_u32_u24_e32 v54, 0xb0, v40
	ds_read2_b64 v[40:43], v37 offset0:32 offset1:208
	ds_read2_b64 v[44:47], v38 offset1:176
	v_or_b32_e32 v39, v54, v39
	s_mov_b32 s4, 0xbf0a6770
	s_mov_b32 s5, 0x3f575c64
	;; [unrolled: 1-line block ×20, first 2 shown]
	v_lshl_add_u32 v39, v39, 3, 0
	s_waitcnt lgkmcnt(0)
	s_barrier
	s_mov_b32 s18, 0x3e903f40
	s_mov_b32 s44, s17
	;; [unrolled: 1-line block ×16, first 2 shown]
	s_movk_i32 s33, 0x2000
	s_waitcnt vmcnt(4)
	v_mov_b32_e32 v56, v7
	v_mov_b32_e32 v57, v6
	s_waitcnt vmcnt(3)
	v_pk_mul_f32 v[58:59], v[8:9], v[32:33] op_sel:[0,1]
	v_pk_mul_f32 v[60:61], v[10:11], v[48:49] op_sel:[0,1]
	v_mul_f32_e32 v54, v5, v3
	v_mul_f32_e32 v55, v5, v2
	s_waitcnt vmcnt(2)
	v_pk_mul_f32 v[62:63], v[12:13], v[52:53] op_sel:[0,1]
	s_waitcnt vmcnt(1)
	v_pk_mul_f32 v[66:67], v[42:43], v[16:17] op_sel:[0,1]
	v_pk_fma_f32 v[74:75], v[10:11], v[48:49], v[60:61] op_sel:[0,0,1] op_sel_hi:[1,1,0] neg_lo:[0,0,1] neg_hi:[0,0,1]
	v_pk_fma_f32 v[10:11], v[10:11], v[48:49], v[60:61] op_sel:[0,0,1] op_sel_hi:[1,0,0]
	v_pk_fma_f32 v[48:49], v[8:9], v[32:33], v[58:59] op_sel:[0,0,1] op_sel_hi:[1,1,0] neg_lo:[0,0,1] neg_hi:[0,0,1]
	v_pk_fma_f32 v[8:9], v[8:9], v[32:33], v[58:59] op_sel:[0,0,1] op_sel_hi:[1,0,0]
	v_pk_mul_f32 v[32:33], v[56:57], v[30:31] op_sel:[0,1]
	v_fma_f32 v54, v4, v2, -v54
	v_fmac_f32_e32 v55, v4, v3
	v_pk_fma_f32 v[4:5], v[12:13], v[52:53], v[62:63] op_sel:[0,0,1] op_sel_hi:[1,1,0] neg_lo:[0,0,1] neg_hi:[0,0,1]
	v_pk_fma_f32 v[2:3], v[12:13], v[52:53], v[62:63] op_sel:[0,0,1] op_sel_hi:[1,0,0]
	v_pk_fma_f32 v[52:53], v[42:43], v[16:17], v[66:67] op_sel:[0,0,1] op_sel_hi:[1,1,0] neg_lo:[0,0,1] neg_hi:[0,0,1]
	v_pk_fma_f32 v[16:17], v[42:43], v[16:17], v[66:67] op_sel:[0,0,1] op_sel_hi:[1,0,0]
	v_pk_fma_f32 v[58:59], v[6:7], v[30:31], v[32:33] neg_lo:[0,0,1] neg_hi:[0,0,1]
	v_pk_fma_f32 v[6:7], v[6:7], v[30:31], v[32:33] op_sel_hi:[1,0,1]
	v_mov_b32_e32 v64, v15
	v_mov_b32_e32 v53, v17
	v_pk_add_f32 v[16:17], v[54:55], v[0:1]
	v_mov_b32_e32 v59, v7
	v_mov_b32_e32 v68, v19
	s_waitcnt vmcnt(0)
	v_pk_mul_f32 v[70:71], v[46:47], v[26:27] op_sel:[0,1]
	v_mov_b32_e32 v72, v29
	v_pk_mul_f32 v[12:13], v[40:41], v[64:65] op_sel_hi:[1,0]
	v_mov_b32_e32 v49, v9
	v_pk_add_f32 v[6:7], v[16:17], v[58:59]
	v_pk_mul_f32 v[42:43], v[44:45], v[68:69] op_sel_hi:[1,0]
	v_pk_fma_f32 v[56:57], v[46:47], v[26:27], v[70:71] op_sel:[0,0,1] op_sel_hi:[1,1,0] neg_lo:[0,0,1] neg_hi:[0,0,1]
	v_pk_fma_f32 v[26:27], v[46:47], v[26:27], v[70:71] op_sel:[0,0,1] op_sel_hi:[1,0,0]
	v_pk_mul_f32 v[46:47], v[50:51], v[72:73] op_sel_hi:[1,0]
	v_pk_fma_f32 v[30:31], v[40:41], v[14:15], v[12:13] op_sel:[0,0,1] op_sel_hi:[1,1,0] neg_lo:[0,0,1] neg_hi:[0,0,1]
	v_pk_fma_f32 v[12:13], v[40:41], v[14:15], v[12:13] op_sel:[0,0,1] op_sel_hi:[1,0,0]
	v_mov_b32_e32 v75, v11
	v_pk_add_f32 v[6:7], v[6:7], v[48:49]
	v_mov_b32_e32 v5, v3
	v_pk_fma_f32 v[8:9], v[44:45], v[18:19], v[42:43] op_sel:[0,0,1] op_sel_hi:[1,1,0] neg_lo:[0,0,1] neg_hi:[0,0,1]
	v_pk_fma_f32 v[2:3], v[44:45], v[18:19], v[42:43] op_sel:[0,0,1] op_sel_hi:[1,0,0]
	v_pk_fma_f32 v[10:11], v[50:51], v[28:29], v[46:47] op_sel:[0,0,1] op_sel_hi:[1,0,0] neg_lo:[0,0,1] neg_hi:[0,0,1]
	v_pk_fma_f32 v[14:15], v[50:51], v[28:29], v[46:47] op_sel:[0,0,1] op_sel_hi:[1,0,0]
	v_mov_b32_e32 v31, v13
	v_pk_add_f32 v[6:7], v[6:7], v[74:75]
	v_mov_b32_e32 v9, v3
	v_add_f32_e32 v40, v54, v10
	v_add_f32_e32 v3, v55, v15
	v_sub_f32_e32 v41, v54, v10
	v_sub_f32_e32 v2, v55, v15
	v_pk_add_f32 v[50:51], v[4:5], v[30:31]
	v_pk_add_f32 v[54:55], v[4:5], v[30:31] neg_lo:[0,1] neg_hi:[0,1]
	v_pk_add_f32 v[4:5], v[6:7], v[4:5]
	v_mov_b32_e32 v57, v27
	v_pk_add_f32 v[4:5], v[4:5], v[30:31]
	v_mov_b32_e32 v11, v15
	v_pk_add_f32 v[4:5], v[4:5], v[52:53]
	v_pk_mul_f32 v[6:7], v[40:41], s[24:25]
	v_pk_add_f32 v[4:5], v[4:5], v[8:9]
	v_pk_add_f32 v[46:47], v[48:49], v[8:9]
	;; [unrolled: 1-line block ×3, first 2 shown]
	v_pk_add_f32 v[16:17], v[48:49], v[8:9] neg_lo:[0,1] neg_hi:[0,1]
	v_pk_add_f32 v[48:49], v[4:5], v[10:11]
	v_pk_fma_f32 v[8:9], v[2:3], s[4:5], v[6:7] neg_lo:[1,0,0] neg_hi:[1,0,0]
	v_pk_fma_f32 v[4:5], v[2:3], s[4:5], v[6:7]
	v_pk_add_f32 v[44:45], v[58:59], v[56:57]
	v_pk_add_f32 v[12:13], v[58:59], v[56:57] neg_lo:[0,1] neg_hi:[0,1]
	v_mov_b32_e32 v9, v5
	v_pk_add_f32 v[14:15], v[8:9], v[0:1]
	v_mov_b32_e32 v9, v45
	v_mov_b32_e32 v45, v12
	;; [unrolled: 1-line block ×3, first 2 shown]
	v_pk_mul_f32 v[12:13], v[44:45], s[38:39]
	v_pk_add_f32 v[42:43], v[74:75], v[52:53]
	v_pk_fma_f32 v[18:19], v[8:9], s[10:11], v[12:13] neg_lo:[1,0,0] neg_hi:[1,0,0]
	v_pk_fma_f32 v[10:11], v[8:9], s[10:11], v[12:13]
	v_pk_add_f32 v[28:29], v[74:75], v[52:53] neg_lo:[0,1] neg_hi:[0,1]
	v_mov_b32_e32 v19, v11
	v_pk_add_f32 v[26:27], v[18:19], v[14:15]
	v_mov_b32_e32 v15, v47
	v_mov_b32_e32 v47, v16
	;; [unrolled: 1-line block ×3, first 2 shown]
	v_pk_mul_f32 v[18:19], v[46:47], s[26:27]
	v_pk_mul_f32 v[60:61], v[44:45], s[28:29]
	v_pk_fma_f32 v[30:31], v[14:15], s[12:13], v[18:19] neg_lo:[1,0,0] neg_hi:[1,0,0]
	v_pk_fma_f32 v[16:17], v[14:15], s[12:13], v[18:19]
	v_pk_fma_f32 v[62:63], v[8:9], s[14:15], v[60:61] neg_lo:[1,0,0] neg_hi:[1,0,0]
	v_mov_b32_e32 v31, v17
	v_pk_add_f32 v[32:33], v[30:31], v[26:27]
	v_mov_b32_e32 v27, v43
	v_mov_b32_e32 v43, v28
	;; [unrolled: 1-line block ×3, first 2 shown]
	v_pk_mul_f32 v[30:31], v[42:43], s[28:29]
	v_pk_fma_f32 v[64:65], v[8:9], s[14:15], v[60:61]
	v_pk_fma_f32 v[52:53], v[26:27], s[14:15], v[30:31] neg_lo:[1,0,0] neg_hi:[1,0,0]
	v_pk_fma_f32 v[28:29], v[26:27], s[14:15], v[30:31]
	v_mov_b32_e32 v63, v65
	v_mov_b32_e32 v53, v29
	v_pk_add_f32 v[52:53], v[52:53], v[32:33]
	v_mov_b32_e32 v33, v51
	v_mov_b32_e32 v51, v54
	;; [unrolled: 1-line block ×3, first 2 shown]
	v_pk_mul_f32 v[54:55], v[50:51], s[34:35]
	v_pk_mul_f32 v[82:83], v[44:45], s[44:45]
	v_pk_fma_f32 v[56:57], v[32:33], s[16:17], v[54:55] neg_lo:[1,0,0] neg_hi:[1,0,0]
	v_pk_fma_f32 v[58:59], v[32:33], s[16:17], v[54:55]
	v_pk_fma_f32 v[84:85], v[8:9], s[18:19], v[82:83] neg_lo:[1,0,0] neg_hi:[1,0,0]
	v_mov_b32_e32 v57, v59
	v_pk_add_f32 v[52:53], v[56:57], v[52:53]
	ds_write2_b64 v39, v[48:49], v[52:53] offset1:16
	v_pk_mul_f32 v[48:49], v[40:41], s[38:39]
	v_pk_fma_f32 v[86:87], v[8:9], s[18:19], v[82:83]
	v_pk_fma_f32 v[52:53], v[2:3], s[10:11], v[48:49] neg_lo:[1,0,0] neg_hi:[1,0,0]
	v_pk_fma_f32 v[56:57], v[2:3], s[10:11], v[48:49]
	v_mov_b32_e32 v85, v87
	v_mov_b32_e32 v53, v57
	v_pk_add_f32 v[52:53], v[52:53], v[0:1]
	v_pk_mul_f32 v[100:101], v[44:45], s[40:41]
	v_pk_add_f32 v[52:53], v[62:63], v[52:53]
	v_pk_mul_f32 v[62:63], v[46:47], s[44:45]
	v_pk_fma_f32 v[102:103], v[8:9], s[20:21], v[100:101] neg_lo:[1,0,0] neg_hi:[1,0,0]
	v_pk_fma_f32 v[66:67], v[14:15], s[18:19], v[62:63] neg_lo:[1,0,0] neg_hi:[1,0,0]
	v_pk_fma_f32 v[68:69], v[14:15], s[18:19], v[62:63]
	v_pk_fma_f32 v[104:105], v[8:9], s[20:21], v[100:101]
	v_mov_b32_e32 v67, v69
	v_pk_add_f32 v[52:53], v[66:67], v[52:53]
	v_pk_mul_f32 v[66:67], v[42:43], s[40:41]
	v_mov_b32_e32 v103, v105
	v_pk_fma_f32 v[70:71], v[26:27], s[20:21], v[66:67] neg_lo:[1,0,0] neg_hi:[1,0,0]
	v_pk_fma_f32 v[72:73], v[26:27], s[20:21], v[66:67]
	v_pk_mul_f32 v[44:45], v[44:45], s[36:37]
	v_mov_b32_e32 v71, v73
	v_pk_add_f32 v[52:53], v[70:71], v[52:53]
	v_pk_mul_f32 v[70:71], v[50:51], s[36:37]
	v_pk_fma_f32 v[120:121], v[8:9], s[22:23], v[44:45] neg_lo:[1,0,0] neg_hi:[1,0,0]
	v_pk_fma_f32 v[74:75], v[32:33], s[22:23], v[70:71] neg_lo:[1,0,0] neg_hi:[1,0,0]
	v_pk_fma_f32 v[76:77], v[32:33], s[22:23], v[70:71]
	v_pk_fma_f32 v[122:123], v[8:9], s[22:23], v[44:45]
	v_mov_b32_e32 v75, v77
	v_pk_add_f32 v[52:53], v[74:75], v[52:53]
	v_pk_mul_f32 v[74:75], v[40:41], s[26:27]
	v_mov_b32_e32 v121, v123
	v_pk_fma_f32 v[78:79], v[2:3], s[12:13], v[74:75] neg_lo:[1,0,0] neg_hi:[1,0,0]
	v_pk_fma_f32 v[80:81], v[2:3], s[12:13], v[74:75]
	s_nop 0
	v_mov_b32_e32 v79, v81
	v_pk_add_f32 v[78:79], v[78:79], v[0:1]
	s_nop 0
	v_pk_add_f32 v[78:79], v[84:85], v[78:79]
	v_pk_mul_f32 v[84:85], v[46:47], s[42:43]
	s_nop 0
	v_pk_fma_f32 v[88:89], v[14:15], s[30:31], v[84:85] neg_lo:[1,0,0] neg_hi:[1,0,0]
	v_pk_fma_f32 v[90:91], v[14:15], s[30:31], v[84:85]
	s_nop 0
	v_mov_b32_e32 v89, v91
	v_pk_add_f32 v[78:79], v[88:89], v[78:79]
	v_pk_mul_f32 v[88:89], v[42:43], s[24:25]
	s_nop 0
	v_pk_fma_f32 v[92:93], v[26:27], s[4:5], v[88:89] neg_lo:[1,0,0] neg_hi:[1,0,0]
	v_pk_fma_f32 v[94:95], v[26:27], s[4:5], v[88:89]
	s_nop 0
	v_mov_b32_e32 v93, v95
	;; [unrolled: 7-line block ×3, first 2 shown]
	v_pk_add_f32 v[78:79], v[96:97], v[78:79]
	ds_write2_b64 v39, v[52:53], v[78:79] offset0:32 offset1:48
	v_pk_mul_f32 v[52:53], v[40:41], s[28:29]
	v_pk_mul_f32 v[40:41], v[40:41], s[34:35]
	v_pk_fma_f32 v[78:79], v[2:3], s[14:15], v[52:53] neg_lo:[1,0,0] neg_hi:[1,0,0]
	v_pk_fma_f32 v[96:97], v[2:3], s[14:15], v[52:53]
	v_pk_fma_f32 v[118:119], v[2:3], s[16:17], v[40:41]
	v_mov_b32_e32 v79, v97
	v_pk_add_f32 v[78:79], v[78:79], v[0:1]
	s_nop 0
	v_pk_add_f32 v[78:79], v[102:103], v[78:79]
	v_pk_mul_f32 v[102:103], v[46:47], s[24:25]
	v_pk_mul_f32 v[46:47], v[46:47], s[28:29]
	v_pk_fma_f32 v[106:107], v[14:15], s[4:5], v[102:103] neg_lo:[1,0,0] neg_hi:[1,0,0]
	v_pk_fma_f32 v[108:109], v[14:15], s[4:5], v[102:103]
	v_pk_fma_f32 v[124:125], v[14:15], s[14:15], v[46:47]
	v_mov_b32_e32 v107, v109
	v_pk_add_f32 v[78:79], v[106:107], v[78:79]
	v_pk_mul_f32 v[106:107], v[42:43], s[34:35]
	v_pk_mul_f32 v[42:43], v[42:43], s[42:43]
	v_pk_fma_f32 v[110:111], v[26:27], s[16:17], v[106:107] neg_lo:[1,0,0] neg_hi:[1,0,0]
	v_pk_fma_f32 v[112:113], v[26:27], s[16:17], v[106:107]
	v_pk_fma_f32 v[126:127], v[26:27], s[30:31], v[42:43]
	v_mov_b32_e32 v111, v113
	;; [unrolled: 7-line block ×3, first 2 shown]
	v_pk_add_f32 v[78:79], v[114:115], v[78:79]
	v_pk_fma_f32 v[114:115], v[2:3], s[16:17], v[40:41] neg_lo:[1,0,0] neg_hi:[1,0,0]
	v_pk_fma_f32 v[40:41], v[2:3], s[16:17], v[40:41] neg_lo:[0,0,1] neg_hi:[0,0,1]
	v_mov_b32_e32 v115, v119
	v_pk_add_f32 v[114:115], v[114:115], v[0:1]
	v_mov_b32_e32 v119, v41
	v_pk_add_f32 v[114:115], v[120:121], v[114:115]
	v_pk_fma_f32 v[120:121], v[14:15], s[14:15], v[46:47] neg_lo:[1,0,0] neg_hi:[1,0,0]
	v_pk_fma_f32 v[40:41], v[8:9], s[22:23], v[44:45] neg_lo:[0,0,1] neg_hi:[0,0,1]
	v_mov_b32_e32 v121, v125
	v_pk_add_f32 v[114:115], v[120:121], v[114:115]
	v_pk_fma_f32 v[120:121], v[26:27], s[30:31], v[42:43] neg_lo:[1,0,0] neg_hi:[1,0,0]
	v_pk_fma_f32 v[42:43], v[26:27], s[30:31], v[42:43] neg_lo:[0,0,1] neg_hi:[0,0,1]
	v_mov_b32_e32 v121, v127
	v_pk_add_f32 v[114:115], v[120:121], v[114:115]
	v_pk_fma_f32 v[120:121], v[32:33], s[12:13], v[50:51] neg_lo:[1,0,0] neg_hi:[1,0,0]
	v_mov_b32_e32 v127, v43
	v_pk_fma_f32 v[42:43], v[32:33], s[12:13], v[50:51] neg_lo:[0,0,1] neg_hi:[0,0,1]
	v_mov_b32_e32 v121, v129
	v_mov_b32_e32 v129, v43
	v_pk_fma_f32 v[42:43], v[2:3], s[14:15], v[52:53] neg_lo:[0,0,1] neg_hi:[0,0,1]
	v_pk_fma_f32 v[44:45], v[14:15], s[14:15], v[46:47] neg_lo:[0,0,1] neg_hi:[0,0,1]
	v_mov_b32_e32 v97, v43
	v_pk_fma_f32 v[42:43], v[8:9], s[20:21], v[100:101] neg_lo:[0,0,1] neg_hi:[0,0,1]
	v_mov_b32_e32 v123, v41
	v_pk_add_f32 v[40:41], v[118:119], v[0:1]
	v_mov_b32_e32 v125, v45
	v_mov_b32_e32 v105, v43
	v_pk_add_f32 v[42:43], v[96:97], v[0:1]
	v_pk_fma_f32 v[44:45], v[14:15], s[4:5], v[102:103] neg_lo:[0,0,1] neg_hi:[0,0,1]
	v_pk_add_f32 v[40:41], v[122:123], v[40:41]
	v_pk_add_f32 v[42:43], v[104:105], v[42:43]
	v_mov_b32_e32 v109, v45
	v_pk_fma_f32 v[44:45], v[26:27], s[16:17], v[106:107] neg_lo:[0,0,1] neg_hi:[0,0,1]
	v_pk_add_f32 v[40:41], v[124:125], v[40:41]
	v_pk_add_f32 v[42:43], v[108:109], v[42:43]
	v_mov_b32_e32 v113, v45
	;; [unrolled: 4-line block ×3, first 2 shown]
	v_pk_add_f32 v[40:41], v[128:129], v[40:41]
	v_pk_add_f32 v[42:43], v[116:117], v[42:43]
	ds_write2_b64 v39, v[40:41], v[42:43] offset0:96 offset1:112
	v_pk_fma_f32 v[42:43], v[14:15], s[30:31], v[84:85] neg_lo:[0,0,1] neg_hi:[0,0,1]
	v_pk_fma_f32 v[40:41], v[2:3], s[12:13], v[74:75] neg_lo:[0,0,1] neg_hi:[0,0,1]
	v_mov_b32_e32 v91, v43
	v_pk_fma_f32 v[42:43], v[26:27], s[4:5], v[88:89] neg_lo:[0,0,1] neg_hi:[0,0,1]
	v_mov_b32_e32 v81, v41
	v_mov_b32_e32 v95, v43
	v_pk_fma_f32 v[42:43], v[32:33], s[14:15], v[92:93] neg_lo:[0,0,1] neg_hi:[0,0,1]
	v_pk_fma_f32 v[40:41], v[8:9], s[18:19], v[82:83] neg_lo:[0,0,1] neg_hi:[0,0,1]
	v_mov_b32_e32 v99, v43
	v_pk_fma_f32 v[42:43], v[2:3], s[10:11], v[48:49] neg_lo:[0,0,1] neg_hi:[0,0,1]
	v_pk_fma_f32 v[2:3], v[2:3], s[4:5], v[6:7] neg_lo:[0,0,1] neg_hi:[0,0,1]
	v_mov_b32_e32 v57, v43
	v_pk_fma_f32 v[42:43], v[8:9], s[14:15], v[60:61] neg_lo:[0,0,1] neg_hi:[0,0,1]
	v_mov_b32_e32 v5, v3
	;; [unrolled: 2-line block ×3, first 2 shown]
	v_pk_add_f32 v[40:41], v[80:81], v[0:1]
	v_mov_b32_e32 v65, v43
	v_pk_add_f32 v[42:43], v[56:57], v[0:1]
	v_pk_fma_f32 v[44:45], v[14:15], s[18:19], v[62:63] neg_lo:[0,0,1] neg_hi:[0,0,1]
	v_pk_add_f32 v[0:1], v[4:5], v[0:1]
	v_mov_b32_e32 v11, v3
	v_pk_fma_f32 v[2:3], v[14:15], s[12:13], v[18:19] neg_lo:[0,0,1] neg_hi:[0,0,1]
	v_pk_add_f32 v[40:41], v[86:87], v[40:41]
	v_pk_add_f32 v[42:43], v[64:65], v[42:43]
	v_mov_b32_e32 v69, v45
	v_pk_fma_f32 v[44:45], v[26:27], s[20:21], v[66:67] neg_lo:[0,0,1] neg_hi:[0,0,1]
	v_pk_add_f32 v[0:1], v[10:11], v[0:1]
	v_mov_b32_e32 v17, v3
	v_pk_fma_f32 v[2:3], v[26:27], s[14:15], v[30:31] neg_lo:[0,0,1] neg_hi:[0,0,1]
	v_pk_add_f32 v[40:41], v[90:91], v[40:41]
	v_pk_add_f32 v[42:43], v[68:69], v[42:43]
	v_mov_b32_e32 v73, v45
	;; [unrolled: 7-line block ×3, first 2 shown]
	v_pk_add_f32 v[0:1], v[28:29], v[0:1]
	v_mov_b32_e32 v59, v3
	v_pk_add_f32 v[114:115], v[120:121], v[114:115]
	v_pk_add_f32 v[40:41], v[98:99], v[40:41]
	;; [unrolled: 1-line block ×4, first 2 shown]
	ds_write2_b64 v39, v[78:79], v[114:115] offset0:64 offset1:80
	ds_write2_b64 v39, v[40:41], v[42:43] offset0:128 offset1:144
	ds_write_b64 v39, v[0:1] offset:1280
	s_waitcnt lgkmcnt(0)
	s_barrier
	s_and_saveexec_b64 s[46:47], s[0:1]
	s_cbranch_execz .LBB0_27
; %bb.26:
	v_mul_u32_u24_e32 v0, 10, v25
	v_lshlrev_b32_e32 v0, 3, v0
	global_load_dwordx4 v[6:9], v0, s[8:9] offset:1392
	global_load_dwordx4 v[10:13], v0, s[8:9] offset:1456
	;; [unrolled: 1-line block ×5, first 2 shown]
	v_mul_lo_u32 v50, s3, v22
	v_mul_lo_u32 v51, s2, v23
	v_mad_u64_u32 v[4:5], s[0:1], s2, v22, 0
	ds_read2_b64 v[0:3], v36 offset1:176
	ds_read2_b64 v[38:41], v38 offset1:176
	ds_read2_b64 v[42:45], v35 offset0:32 offset1:208
	ds_read2_b64 v[46:49], v37 offset0:32 offset1:208
	ds_read_b64 v[18:19], v36 offset:14080
	ds_read_b64 v[22:23], v36 offset:5632
	;; [unrolled: 1-line block ×3, first 2 shown]
	v_add3_u32 v5, v5, v51, v50
	v_lshl_add_u64 v[4:5], v[4:5], 3, s[6:7]
	v_mov_b32_e32 v25, 0
	v_lshl_add_u64 v[4:5], v[20:21], 3, v[4:5]
	v_lshl_add_u64 v[4:5], v[24:25], 3, v[4:5]
	s_movk_i32 s0, 0x1000
	s_waitcnt vmcnt(4) lgkmcnt(6)
	v_mul_f32_e32 v21, v6, v3
	v_mul_f32_e32 v3, v7, v3
	s_waitcnt vmcnt(3) lgkmcnt(2)
	v_pk_mul_f32 v[24:25], v[12:13], v[18:19] op_sel:[0,1]
	v_pk_mul_f32 v[36:37], v[8:9], v[42:43] op_sel:[0,1]
	;; [unrolled: 1-line block ×3, first 2 shown]
	s_waitcnt vmcnt(2)
	v_pk_mul_f32 v[52:53], v[14:15], v[44:45] op_sel:[0,1]
	s_waitcnt vmcnt(1)
	v_pk_mul_f32 v[54:55], v[28:29], v[38:39] op_sel:[0,1]
	s_waitcnt lgkmcnt(1)
	v_pk_mul_f32 v[56:57], v[16:17], v[22:23] op_sel:[0,1]
	v_fmac_f32_e32 v21, v7, v2
	v_fma_f32 v20, v6, v2, -v3
	v_pk_fma_f32 v[64:65], v[12:13], v[18:19], v[24:25] op_sel:[0,0,1] op_sel_hi:[1,0,0] neg_lo:[0,0,1] neg_hi:[0,0,1]
	v_pk_fma_f32 v[6:7], v[12:13], v[18:19], v[24:25] op_sel:[0,0,1] op_sel_hi:[1,0,0]
	v_pk_fma_f32 v[18:19], v[8:9], v[42:43], v[36:37] op_sel:[0,0,1] op_sel_hi:[1,1,0] neg_lo:[0,0,1] neg_hi:[0,0,1]
	v_pk_fma_f32 v[8:9], v[8:9], v[42:43], v[36:37] op_sel:[0,0,1] op_sel_hi:[1,0,0]
	;; [unrolled: 2-line block ×6, first 2 shown]
	v_mov_b32_e32 v19, v9
	v_mov_b32_e32 v25, v11
	;; [unrolled: 1-line block ×3, first 2 shown]
	v_pk_add_f32 v[14:15], v[20:21], v[0:1]
	s_waitcnt vmcnt(0) lgkmcnt(0)
	v_pk_mul_f32 v[60:61], v[30:31], v[34:35] op_sel:[0,1]
	v_mov_b32_e32 v37, v13
	v_mov_b32_e32 v29, v17
	v_pk_add_f32 v[12:13], v[24:25], v[18:19]
	v_pk_add_f32 v[16:17], v[18:19], v[24:25] neg_lo:[0,1] neg_hi:[0,1]
	v_pk_add_f32 v[18:19], v[14:15], v[18:19]
	v_pk_mul_f32 v[62:63], v[32:33], v[46:47] op_sel:[0,1]
	v_pk_fma_f32 v[38:39], v[30:31], v[34:35], v[60:61] op_sel:[0,0,1] op_sel_hi:[1,1,0] neg_lo:[0,0,1] neg_hi:[0,0,1]
	v_pk_fma_f32 v[30:31], v[30:31], v[34:35], v[60:61] op_sel:[0,0,1] op_sel_hi:[1,0,0]
	v_add_f32_e32 v3, v7, v21
	v_sub_f32_e32 v43, v20, v64
	v_add_f32_e32 v42, v64, v20
	v_sub_f32_e32 v2, v21, v7
	v_pk_add_f32 v[10:11], v[40:41], v[36:37]
	v_pk_add_f32 v[20:21], v[36:37], v[40:41] neg_lo:[0,1] neg_hi:[0,1]
	v_pk_add_f32 v[18:19], v[18:19], v[36:37]
	v_pk_mul_f32 v[58:59], v[26:27], v[48:49] op_sel:[0,1]
	v_pk_fma_f32 v[34:35], v[32:33], v[46:47], v[62:63] op_sel:[0,0,1] op_sel_hi:[1,1,0] neg_lo:[0,0,1] neg_hi:[0,0,1]
	v_pk_fma_f32 v[32:33], v[32:33], v[46:47], v[62:63] op_sel:[0,0,1] op_sel_hi:[1,0,0]
	v_mov_b32_e32 v39, v31
	v_mov_b32_e32 v36, v10
	;; [unrolled: 1-line block ×4, first 2 shown]
	v_pk_add_f32 v[20:21], v[18:19], v[28:29]
	v_pk_fma_f32 v[22:23], v[26:27], v[48:49], v[58:59] op_sel:[0,0,1] op_sel_hi:[1,1,0] neg_lo:[0,0,1] neg_hi:[0,0,1]
	v_pk_fma_f32 v[26:27], v[26:27], v[48:49], v[58:59] op_sel:[0,0,1] op_sel_hi:[1,0,0]
	v_mov_b32_e32 v35, v33
	v_pk_add_f32 v[20:21], v[20:21], v[38:39]
	v_mov_b32_e32 v23, v27
	v_pk_add_f32 v[20:21], v[34:35], v[20:21]
	;; [unrolled: 2-line block ×3, first 2 shown]
	v_pk_add_f32 v[8:9], v[22:23], v[28:29]
	v_pk_add_f32 v[26:27], v[28:29], v[22:23] neg_lo:[0,1] neg_hi:[0,1]
	v_pk_add_f32 v[6:7], v[34:35], v[38:39]
	v_pk_add_f32 v[30:31], v[38:39], v[34:35] neg_lo:[0,1] neg_hi:[0,1]
	v_pk_mul_f32 v[14:15], v[42:43], s[24:25]
	v_mov_b32_e32 v32, v12
	v_mov_b32_e32 v33, v16
	v_pk_add_f32 v[20:21], v[40:41], v[20:21]
	v_mov_b32_e32 v12, v17
	v_pk_mul_f32 v[18:19], v[32:33], s[38:39]
	v_pk_add_f32 v[20:21], v[24:25], v[20:21]
	v_mov_b32_e32 v24, v8
	v_mov_b32_e32 v25, v26
	v_mov_b32_e32 v8, v27
	v_mov_b32_e32 v26, v6
	v_mov_b32_e32 v27, v30
	v_mov_b32_e32 v6, v31
	v_pk_fma_f32 v[28:29], v[2:3], s[4:5], v[14:15] neg_lo:[1,0,0] neg_hi:[1,0,0]
	v_pk_fma_f32 v[30:31], v[2:3], s[4:5], v[14:15]
	v_pk_fma_f32 v[34:35], v[12:13], s[10:11], v[18:19] neg_lo:[1,0,0] neg_hi:[1,0,0]
	v_mov_b32_e32 v29, v31
	v_pk_fma_f32 v[38:39], v[12:13], s[10:11], v[18:19]
	v_pk_mul_f32 v[16:17], v[36:37], s[26:27]
	v_pk_add_f32 v[28:29], v[28:29], v[0:1]
	v_mov_b32_e32 v35, v39
	v_pk_add_f32 v[20:21], v[64:65], v[20:21]
	v_pk_add_f32 v[28:29], v[28:29], v[34:35]
	v_pk_fma_f32 v[34:35], v[10:11], s[12:13], v[16:17] neg_lo:[1,0,0] neg_hi:[1,0,0]
	v_pk_fma_f32 v[40:41], v[10:11], s[12:13], v[16:17]
	global_store_dwordx2 v[4:5], v[20:21], off
	v_pk_mul_f32 v[20:21], v[24:25], s[28:29]
	v_mov_b32_e32 v35, v41
	v_pk_add_f32 v[28:29], v[28:29], v[34:35]
	v_pk_fma_f32 v[34:35], v[8:9], s[14:15], v[20:21] neg_lo:[1,0,0] neg_hi:[1,0,0]
	v_pk_fma_f32 v[44:45], v[8:9], s[14:15], v[20:21]
	v_pk_mul_f32 v[22:23], v[26:27], s[34:35]
	v_mov_b32_e32 v35, v45
	v_pk_add_f32 v[28:29], v[28:29], v[34:35]
	v_pk_fma_f32 v[34:35], v[6:7], s[16:17], v[22:23] neg_lo:[1,0,0] neg_hi:[1,0,0]
	v_pk_fma_f32 v[46:47], v[6:7], s[16:17], v[22:23]
	v_pk_mul_f32 v[48:49], v[36:37], s[44:45]
	v_mov_b32_e32 v35, v47
	v_pk_add_f32 v[28:29], v[28:29], v[34:35]
	global_store_dwordx2 v[4:5], v[28:29], off offset:1408
	v_pk_mul_f32 v[28:29], v[42:43], s[38:39]
	v_pk_mul_f32 v[34:35], v[32:33], s[28:29]
	v_pk_fma_f32 v[54:55], v[2:3], s[10:11], v[28:29] neg_lo:[1,0,0] neg_hi:[1,0,0]
	v_pk_fma_f32 v[56:57], v[2:3], s[10:11], v[28:29]
	v_pk_fma_f32 v[58:59], v[12:13], s[14:15], v[34:35] neg_lo:[1,0,0] neg_hi:[1,0,0]
	v_mov_b32_e32 v55, v57
	v_pk_fma_f32 v[60:61], v[12:13], s[14:15], v[34:35]
	v_pk_add_f32 v[54:55], v[54:55], v[0:1]
	v_mov_b32_e32 v59, v61
	v_pk_add_f32 v[54:55], v[54:55], v[58:59]
	v_pk_fma_f32 v[58:59], v[10:11], s[18:19], v[48:49] neg_lo:[1,0,0] neg_hi:[1,0,0]
	v_pk_fma_f32 v[62:63], v[10:11], s[18:19], v[48:49]
	v_pk_mul_f32 v[50:51], v[24:25], s[40:41]
	v_mov_b32_e32 v59, v63
	v_pk_add_f32 v[54:55], v[54:55], v[58:59]
	v_pk_fma_f32 v[58:59], v[8:9], s[20:21], v[50:51] neg_lo:[1,0,0] neg_hi:[1,0,0]
	v_pk_fma_f32 v[64:65], v[8:9], s[20:21], v[50:51]
	v_pk_mul_f32 v[52:53], v[26:27], s[36:37]
	;; [unrolled: 5-line block ×3, first 2 shown]
	v_mov_b32_e32 v59, v67
	v_pk_add_f32 v[54:55], v[54:55], v[58:59]
	global_store_dwordx2 v[4:5], v[54:55], off offset:2816
	v_pk_mul_f32 v[54:55], v[42:43], s[26:27]
	v_pk_mul_f32 v[58:59], v[32:33], s[44:45]
	v_pk_fma_f32 v[74:75], v[2:3], s[12:13], v[54:55] neg_lo:[1,0,0] neg_hi:[1,0,0]
	v_pk_fma_f32 v[76:77], v[2:3], s[12:13], v[54:55]
	v_pk_fma_f32 v[78:79], v[12:13], s[18:19], v[58:59] neg_lo:[1,0,0] neg_hi:[1,0,0]
	v_mov_b32_e32 v75, v77
	v_pk_fma_f32 v[80:81], v[12:13], s[18:19], v[58:59]
	v_pk_add_f32 v[74:75], v[74:75], v[0:1]
	v_mov_b32_e32 v79, v81
	v_pk_add_f32 v[74:75], v[74:75], v[78:79]
	v_pk_fma_f32 v[78:79], v[10:11], s[30:31], v[68:69] neg_lo:[1,0,0] neg_hi:[1,0,0]
	v_pk_fma_f32 v[82:83], v[10:11], s[30:31], v[68:69]
	v_pk_mul_f32 v[70:71], v[24:25], s[24:25]
	v_mov_b32_e32 v79, v83
	v_pk_add_f32 v[74:75], v[74:75], v[78:79]
	v_pk_fma_f32 v[78:79], v[8:9], s[4:5], v[70:71] neg_lo:[1,0,0] neg_hi:[1,0,0]
	v_pk_fma_f32 v[84:85], v[8:9], s[4:5], v[70:71]
	v_pk_mul_f32 v[72:73], v[26:27], s[28:29]
	;; [unrolled: 5-line block ×3, first 2 shown]
	v_mov_b32_e32 v79, v87
	v_pk_add_f32 v[74:75], v[74:75], v[78:79]
	v_add_co_u32_e32 v78, vcc, s0, v4
	v_pk_fma_f32 v[94:95], v[12:13], s[20:21], v[92:93] neg_lo:[1,0,0] neg_hi:[1,0,0]
	s_nop 0
	v_addc_co_u32_e32 v79, vcc, 0, v5, vcc
	global_store_dwordx2 v[78:79], v[74:75], off offset:128
	v_pk_mul_f32 v[74:75], v[42:43], s[28:29]
	v_pk_fma_f32 v[96:97], v[12:13], s[20:21], v[92:93]
	v_pk_fma_f32 v[88:89], v[2:3], s[14:15], v[74:75] neg_lo:[1,0,0] neg_hi:[1,0,0]
	v_pk_fma_f32 v[90:91], v[2:3], s[14:15], v[74:75]
	v_mov_b32_e32 v95, v97
	v_mov_b32_e32 v89, v91
	v_pk_add_f32 v[88:89], v[88:89], v[0:1]
	v_pk_mul_f32 v[42:43], v[42:43], s[34:35]
	v_pk_add_f32 v[88:89], v[88:89], v[94:95]
	v_pk_mul_f32 v[94:95], v[36:37], s[24:25]
	v_pk_mul_f32 v[32:33], v[32:33], s[36:37]
	v_pk_fma_f32 v[98:99], v[10:11], s[4:5], v[94:95] neg_lo:[1,0,0] neg_hi:[1,0,0]
	v_pk_fma_f32 v[100:101], v[10:11], s[4:5], v[94:95]
	v_pk_fma_f32 v[110:111], v[12:13], s[22:23], v[32:33] neg_lo:[1,0,0] neg_hi:[1,0,0]
	v_mov_b32_e32 v99, v101
	v_pk_add_f32 v[88:89], v[88:89], v[98:99]
	v_pk_mul_f32 v[98:99], v[24:25], s[34:35]
	v_pk_fma_f32 v[112:113], v[12:13], s[22:23], v[32:33]
	v_pk_fma_f32 v[102:103], v[8:9], s[16:17], v[98:99] neg_lo:[1,0,0] neg_hi:[1,0,0]
	v_pk_fma_f32 v[104:105], v[8:9], s[16:17], v[98:99]
	v_pk_mul_f32 v[36:37], v[36:37], s[28:29]
	v_mov_b32_e32 v103, v105
	v_pk_add_f32 v[88:89], v[88:89], v[102:103]
	v_pk_mul_f32 v[102:103], v[26:27], s[42:43]
	v_mov_b32_e32 v111, v113
	v_pk_fma_f32 v[106:107], v[6:7], s[30:31], v[102:103] neg_lo:[1,0,0] neg_hi:[1,0,0]
	v_pk_fma_f32 v[108:109], v[6:7], s[30:31], v[102:103]
	v_pk_fma_f32 v[114:115], v[10:11], s[14:15], v[36:37]
	v_mov_b32_e32 v107, v109
	v_pk_add_f32 v[88:89], v[88:89], v[106:107]
	global_store_dwordx2 v[78:79], v[88:89], off offset:1536
	v_pk_fma_f32 v[88:89], v[2:3], s[16:17], v[42:43] neg_lo:[1,0,0] neg_hi:[1,0,0]
	v_pk_fma_f32 v[106:107], v[2:3], s[16:17], v[42:43]
	v_pk_fma_f32 v[42:43], v[2:3], s[16:17], v[42:43] neg_lo:[0,0,1] neg_hi:[0,0,1]
	v_mov_b32_e32 v89, v107
	v_pk_add_f32 v[88:89], v[88:89], v[0:1]
	v_pk_mul_f32 v[24:25], v[24:25], s[42:43]
	v_pk_add_f32 v[88:89], v[88:89], v[110:111]
	v_pk_fma_f32 v[110:111], v[10:11], s[14:15], v[36:37] neg_lo:[1,0,0] neg_hi:[1,0,0]
	v_mov_b32_e32 v107, v43
	v_mov_b32_e32 v111, v115
	v_pk_fma_f32 v[32:33], v[12:13], s[22:23], v[32:33] neg_lo:[0,0,1] neg_hi:[0,0,1]
	v_pk_add_f32 v[88:89], v[88:89], v[110:111]
	v_pk_fma_f32 v[110:111], v[8:9], s[30:31], v[24:25] neg_lo:[1,0,0] neg_hi:[1,0,0]
	v_pk_fma_f32 v[116:117], v[8:9], s[30:31], v[24:25]
	v_pk_add_f32 v[42:43], v[106:107], v[0:1]
	v_mov_b32_e32 v113, v33
	v_pk_fma_f32 v[36:37], v[10:11], s[14:15], v[36:37] neg_lo:[0,0,1] neg_hi:[0,0,1]
	v_pk_mul_f32 v[26:27], v[26:27], s[26:27]
	v_mov_b32_e32 v111, v117
	v_pk_add_f32 v[32:33], v[42:43], v[112:113]
	v_mov_b32_e32 v115, v37
	v_pk_fma_f32 v[24:25], v[8:9], s[30:31], v[24:25] neg_lo:[0,0,1] neg_hi:[0,0,1]
	v_pk_add_f32 v[88:89], v[88:89], v[110:111]
	v_pk_fma_f32 v[110:111], v[6:7], s[12:13], v[26:27] neg_lo:[1,0,0] neg_hi:[1,0,0]
	v_pk_fma_f32 v[118:119], v[6:7], s[12:13], v[26:27]
	v_pk_add_f32 v[32:33], v[32:33], v[114:115]
	v_mov_b32_e32 v117, v25
	v_pk_fma_f32 v[26:27], v[6:7], s[12:13], v[26:27] neg_lo:[0,0,1] neg_hi:[0,0,1]
	v_mov_b32_e32 v111, v119
	v_pk_add_f32 v[24:25], v[32:33], v[116:117]
	v_mov_b32_e32 v119, v27
	v_add_co_u32_e32 v26, vcc, s33, v4
	v_pk_add_f32 v[24:25], v[24:25], v[118:119]
	s_nop 0
	v_addc_co_u32_e32 v27, vcc, 0, v5, vcc
	global_store_dwordx2 v[26:27], v[24:25], off offset:256
	v_pk_fma_f32 v[24:25], v[2:3], s[14:15], v[74:75] neg_lo:[0,0,1] neg_hi:[0,0,1]
	v_pk_fma_f32 v[32:33], v[12:13], s[20:21], v[92:93] neg_lo:[0,0,1] neg_hi:[0,0,1]
	v_mov_b32_e32 v91, v25
	v_pk_add_f32 v[24:25], v[90:91], v[0:1]
	v_mov_b32_e32 v97, v33
	v_pk_fma_f32 v[32:33], v[10:11], s[4:5], v[94:95] neg_lo:[0,0,1] neg_hi:[0,0,1]
	v_pk_add_f32 v[24:25], v[24:25], v[96:97]
	v_mov_b32_e32 v101, v33
	v_pk_fma_f32 v[32:33], v[8:9], s[16:17], v[98:99] neg_lo:[0,0,1] neg_hi:[0,0,1]
	;; [unrolled: 3-line block ×3, first 2 shown]
	v_pk_add_f32 v[24:25], v[24:25], v[104:105]
	v_mov_b32_e32 v109, v33
	v_pk_add_f32 v[24:25], v[24:25], v[108:109]
	global_store_dwordx2 v[26:27], v[24:25], off offset:1664
	v_pk_fma_f32 v[24:25], v[2:3], s[12:13], v[54:55] neg_lo:[0,0,1] neg_hi:[0,0,1]
	v_pk_fma_f32 v[32:33], v[12:13], s[18:19], v[58:59] neg_lo:[0,0,1] neg_hi:[0,0,1]
	v_mov_b32_e32 v77, v25
	v_pk_add_f32 v[24:25], v[76:77], v[0:1]
	v_mov_b32_e32 v81, v33
	v_pk_fma_f32 v[32:33], v[10:11], s[30:31], v[68:69] neg_lo:[0,0,1] neg_hi:[0,0,1]
	v_pk_add_f32 v[24:25], v[24:25], v[80:81]
	v_mov_b32_e32 v83, v33
	v_pk_fma_f32 v[32:33], v[8:9], s[4:5], v[70:71] neg_lo:[0,0,1] neg_hi:[0,0,1]
	;; [unrolled: 3-line block ×3, first 2 shown]
	v_pk_add_f32 v[24:25], v[24:25], v[84:85]
	v_mov_b32_e32 v87, v33
	v_pk_add_f32 v[24:25], v[24:25], v[86:87]
	global_store_dwordx2 v[26:27], v[24:25], off offset:3072
	v_pk_fma_f32 v[24:25], v[2:3], s[10:11], v[28:29] neg_lo:[0,0,1] neg_hi:[0,0,1]
	v_pk_fma_f32 v[2:3], v[2:3], s[4:5], v[14:15] neg_lo:[0,0,1] neg_hi:[0,0,1]
	v_mov_b32_e32 v57, v25
	v_pk_fma_f32 v[26:27], v[12:13], s[14:15], v[34:35] neg_lo:[0,0,1] neg_hi:[0,0,1]
	v_mov_b32_e32 v31, v3
	v_pk_fma_f32 v[2:3], v[12:13], s[10:11], v[18:19] neg_lo:[0,0,1] neg_hi:[0,0,1]
	v_pk_add_f32 v[24:25], v[56:57], v[0:1]
	v_mov_b32_e32 v61, v27
	v_pk_fma_f32 v[26:27], v[10:11], s[18:19], v[48:49] neg_lo:[0,0,1] neg_hi:[0,0,1]
	v_pk_add_f32 v[0:1], v[30:31], v[0:1]
	;; [unrolled: 3-line block ×5, first 2 shown]
	v_mov_b32_e32 v65, v27
	v_pk_fma_f32 v[26:27], v[6:7], s[22:23], v[52:53] neg_lo:[0,0,1] neg_hi:[0,0,1]
	s_movk_i32 s0, 0x3000
	v_pk_add_f32 v[0:1], v[0:1], v[40:41]
	v_mov_b32_e32 v45, v3
	v_pk_fma_f32 v[2:3], v[6:7], s[16:17], v[22:23] neg_lo:[0,0,1] neg_hi:[0,0,1]
	v_pk_add_f32 v[24:25], v[24:25], v[64:65]
	v_mov_b32_e32 v67, v27
	v_add_co_u32_e32 v4, vcc, s0, v4
	v_pk_add_f32 v[0:1], v[0:1], v[44:45]
	v_mov_b32_e32 v47, v3
	v_pk_add_f32 v[88:89], v[88:89], v[110:111]
	v_pk_add_f32 v[24:25], v[24:25], v[66:67]
	v_addc_co_u32_e32 v5, vcc, 0, v5, vcc
	v_pk_add_f32 v[0:1], v[0:1], v[46:47]
	global_store_dwordx2 v[78:79], v[88:89], off offset:2944
	global_store_dwordx2 v[4:5], v[24:25], off offset:384
	;; [unrolled: 1-line block ×3, first 2 shown]
.LBB0_27:
	s_endpgm
	.section	.rodata,"a",@progbits
	.p2align	6, 0x0
	.amdhsa_kernel fft_rtc_fwd_len1936_factors_2_2_4_11_11_wgs_176_tpt_176_sp_op_CI_CI_unitstride_sbrr_dirReg
		.amdhsa_group_segment_fixed_size 0
		.amdhsa_private_segment_fixed_size 0
		.amdhsa_kernarg_size 104
		.amdhsa_user_sgpr_count 2
		.amdhsa_user_sgpr_dispatch_ptr 0
		.amdhsa_user_sgpr_queue_ptr 0
		.amdhsa_user_sgpr_kernarg_segment_ptr 1
		.amdhsa_user_sgpr_dispatch_id 0
		.amdhsa_user_sgpr_kernarg_preload_length 0
		.amdhsa_user_sgpr_kernarg_preload_offset 0
		.amdhsa_user_sgpr_private_segment_size 0
		.amdhsa_uses_dynamic_stack 0
		.amdhsa_enable_private_segment 0
		.amdhsa_system_sgpr_workgroup_id_x 1
		.amdhsa_system_sgpr_workgroup_id_y 0
		.amdhsa_system_sgpr_workgroup_id_z 0
		.amdhsa_system_sgpr_workgroup_info 0
		.amdhsa_system_vgpr_workitem_id 0
		.amdhsa_next_free_vgpr 130
		.amdhsa_next_free_sgpr 48
		.amdhsa_accum_offset 132
		.amdhsa_reserve_vcc 1
		.amdhsa_float_round_mode_32 0
		.amdhsa_float_round_mode_16_64 0
		.amdhsa_float_denorm_mode_32 3
		.amdhsa_float_denorm_mode_16_64 3
		.amdhsa_dx10_clamp 1
		.amdhsa_ieee_mode 1
		.amdhsa_fp16_overflow 0
		.amdhsa_tg_split 0
		.amdhsa_exception_fp_ieee_invalid_op 0
		.amdhsa_exception_fp_denorm_src 0
		.amdhsa_exception_fp_ieee_div_zero 0
		.amdhsa_exception_fp_ieee_overflow 0
		.amdhsa_exception_fp_ieee_underflow 0
		.amdhsa_exception_fp_ieee_inexact 0
		.amdhsa_exception_int_div_zero 0
	.end_amdhsa_kernel
	.text
.Lfunc_end0:
	.size	fft_rtc_fwd_len1936_factors_2_2_4_11_11_wgs_176_tpt_176_sp_op_CI_CI_unitstride_sbrr_dirReg, .Lfunc_end0-fft_rtc_fwd_len1936_factors_2_2_4_11_11_wgs_176_tpt_176_sp_op_CI_CI_unitstride_sbrr_dirReg
                                        ; -- End function
	.section	.AMDGPU.csdata,"",@progbits
; Kernel info:
; codeLenInByte = 7844
; NumSgprs: 54
; NumVgprs: 130
; NumAgprs: 0
; TotalNumVgprs: 130
; ScratchSize: 0
; MemoryBound: 0
; FloatMode: 240
; IeeeMode: 1
; LDSByteSize: 0 bytes/workgroup (compile time only)
; SGPRBlocks: 6
; VGPRBlocks: 16
; NumSGPRsForWavesPerEU: 54
; NumVGPRsForWavesPerEU: 130
; AccumOffset: 132
; Occupancy: 3
; WaveLimiterHint : 1
; COMPUTE_PGM_RSRC2:SCRATCH_EN: 0
; COMPUTE_PGM_RSRC2:USER_SGPR: 2
; COMPUTE_PGM_RSRC2:TRAP_HANDLER: 0
; COMPUTE_PGM_RSRC2:TGID_X_EN: 1
; COMPUTE_PGM_RSRC2:TGID_Y_EN: 0
; COMPUTE_PGM_RSRC2:TGID_Z_EN: 0
; COMPUTE_PGM_RSRC2:TIDIG_COMP_CNT: 0
; COMPUTE_PGM_RSRC3_GFX90A:ACCUM_OFFSET: 32
; COMPUTE_PGM_RSRC3_GFX90A:TG_SPLIT: 0
	.text
	.p2alignl 6, 3212836864
	.fill 256, 4, 3212836864
	.type	__hip_cuid_ff9df21153fe8ce1,@object ; @__hip_cuid_ff9df21153fe8ce1
	.section	.bss,"aw",@nobits
	.globl	__hip_cuid_ff9df21153fe8ce1
__hip_cuid_ff9df21153fe8ce1:
	.byte	0                               ; 0x0
	.size	__hip_cuid_ff9df21153fe8ce1, 1

	.ident	"AMD clang version 19.0.0git (https://github.com/RadeonOpenCompute/llvm-project roc-6.4.0 25133 c7fe45cf4b819c5991fe208aaa96edf142730f1d)"
	.section	".note.GNU-stack","",@progbits
	.addrsig
	.addrsig_sym __hip_cuid_ff9df21153fe8ce1
	.amdgpu_metadata
---
amdhsa.kernels:
  - .agpr_count:     0
    .args:
      - .actual_access:  read_only
        .address_space:  global
        .offset:         0
        .size:           8
        .value_kind:     global_buffer
      - .offset:         8
        .size:           8
        .value_kind:     by_value
      - .actual_access:  read_only
        .address_space:  global
        .offset:         16
        .size:           8
        .value_kind:     global_buffer
      - .actual_access:  read_only
        .address_space:  global
        .offset:         24
        .size:           8
        .value_kind:     global_buffer
      - .actual_access:  read_only
        .address_space:  global
        .offset:         32
        .size:           8
        .value_kind:     global_buffer
      - .offset:         40
        .size:           8
        .value_kind:     by_value
      - .actual_access:  read_only
        .address_space:  global
        .offset:         48
        .size:           8
        .value_kind:     global_buffer
      - .actual_access:  read_only
        .address_space:  global
        .offset:         56
        .size:           8
        .value_kind:     global_buffer
      - .offset:         64
        .size:           4
        .value_kind:     by_value
      - .actual_access:  read_only
        .address_space:  global
        .offset:         72
        .size:           8
        .value_kind:     global_buffer
      - .actual_access:  read_only
        .address_space:  global
        .offset:         80
        .size:           8
        .value_kind:     global_buffer
      - .actual_access:  read_only
        .address_space:  global
        .offset:         88
        .size:           8
        .value_kind:     global_buffer
      - .actual_access:  write_only
        .address_space:  global
        .offset:         96
        .size:           8
        .value_kind:     global_buffer
    .group_segment_fixed_size: 0
    .kernarg_segment_align: 8
    .kernarg_segment_size: 104
    .language:       OpenCL C
    .language_version:
      - 2
      - 0
    .max_flat_workgroup_size: 176
    .name:           fft_rtc_fwd_len1936_factors_2_2_4_11_11_wgs_176_tpt_176_sp_op_CI_CI_unitstride_sbrr_dirReg
    .private_segment_fixed_size: 0
    .sgpr_count:     54
    .sgpr_spill_count: 0
    .symbol:         fft_rtc_fwd_len1936_factors_2_2_4_11_11_wgs_176_tpt_176_sp_op_CI_CI_unitstride_sbrr_dirReg.kd
    .uniform_work_group_size: 1
    .uses_dynamic_stack: false
    .vgpr_count:     130
    .vgpr_spill_count: 0
    .wavefront_size: 64
amdhsa.target:   amdgcn-amd-amdhsa--gfx950
amdhsa.version:
  - 1
  - 2
...

	.end_amdgpu_metadata
